;; amdgpu-corpus repo=ROCm/rocFFT kind=compiled arch=gfx1030 opt=O3
	.text
	.amdgcn_target "amdgcn-amd-amdhsa--gfx1030"
	.amdhsa_code_object_version 6
	.protected	fft_rtc_back_len156_factors_3_4_13_wgs_117_tpt_13_dp_ip_CI_unitstride_sbrr_R2C_dirReg ; -- Begin function fft_rtc_back_len156_factors_3_4_13_wgs_117_tpt_13_dp_ip_CI_unitstride_sbrr_R2C_dirReg
	.globl	fft_rtc_back_len156_factors_3_4_13_wgs_117_tpt_13_dp_ip_CI_unitstride_sbrr_R2C_dirReg
	.p2align	8
	.type	fft_rtc_back_len156_factors_3_4_13_wgs_117_tpt_13_dp_ip_CI_unitstride_sbrr_R2C_dirReg,@function
fft_rtc_back_len156_factors_3_4_13_wgs_117_tpt_13_dp_ip_CI_unitstride_sbrr_R2C_dirReg: ; @fft_rtc_back_len156_factors_3_4_13_wgs_117_tpt_13_dp_ip_CI_unitstride_sbrr_R2C_dirReg
; %bb.0:
	s_load_dwordx4 s[8:11], s[4:5], 0x0
	v_mul_u32_u24_e32 v1, 0x13b2, v0
	s_clause 0x1
	s_load_dwordx2 s[2:3], s[4:5], 0x50
	s_load_dwordx2 s[12:13], s[4:5], 0x18
	v_mov_b32_e32 v5, 0
	v_mov_b32_e32 v3, 0
	;; [unrolled: 1-line block ×3, first 2 shown]
	v_lshrrev_b32_e32 v1, 16, v1
	v_mad_u64_u32 v[1:2], null, s6, 9, v[1:2]
	v_mov_b32_e32 v2, v5
	v_mov_b32_e32 v10, v2
	;; [unrolled: 1-line block ×3, first 2 shown]
	s_waitcnt lgkmcnt(0)
	v_cmp_lt_u64_e64 s0, s[10:11], 2
	s_and_b32 vcc_lo, exec_lo, s0
	s_cbranch_vccnz .LBB0_8
; %bb.1:
	s_load_dwordx2 s[0:1], s[4:5], 0x10
	v_mov_b32_e32 v3, 0
	v_mov_b32_e32 v8, v2
	s_add_u32 s6, s12, 8
	v_mov_b32_e32 v4, 0
	v_mov_b32_e32 v7, v1
	s_addc_u32 s7, s13, 0
	s_mov_b64 s[16:17], 1
	s_waitcnt lgkmcnt(0)
	s_add_u32 s14, s0, 8
	s_addc_u32 s15, s1, 0
.LBB0_2:                                ; =>This Inner Loop Header: Depth=1
	s_load_dwordx2 s[18:19], s[14:15], 0x0
                                        ; implicit-def: $vgpr9_vgpr10
	s_mov_b32 s0, exec_lo
	s_waitcnt lgkmcnt(0)
	v_or_b32_e32 v6, s19, v8
	v_cmpx_ne_u64_e32 0, v[5:6]
	s_xor_b32 s1, exec_lo, s0
	s_cbranch_execz .LBB0_4
; %bb.3:                                ;   in Loop: Header=BB0_2 Depth=1
	v_cvt_f32_u32_e32 v2, s18
	v_cvt_f32_u32_e32 v6, s19
	s_sub_u32 s0, 0, s18
	s_subb_u32 s20, 0, s19
	v_fmac_f32_e32 v2, 0x4f800000, v6
	v_rcp_f32_e32 v2, v2
	v_mul_f32_e32 v2, 0x5f7ffffc, v2
	v_mul_f32_e32 v6, 0x2f800000, v2
	v_trunc_f32_e32 v6, v6
	v_fmac_f32_e32 v2, 0xcf800000, v6
	v_cvt_u32_f32_e32 v6, v6
	v_cvt_u32_f32_e32 v2, v2
	v_mul_lo_u32 v9, s0, v6
	v_mul_hi_u32 v10, s0, v2
	v_mul_lo_u32 v11, s20, v2
	v_add_nc_u32_e32 v9, v10, v9
	v_mul_lo_u32 v10, s0, v2
	v_add_nc_u32_e32 v9, v9, v11
	v_mul_hi_u32 v11, v2, v10
	v_mul_lo_u32 v12, v2, v9
	v_mul_hi_u32 v13, v2, v9
	v_mul_hi_u32 v14, v6, v10
	v_mul_lo_u32 v10, v6, v10
	v_mul_hi_u32 v15, v6, v9
	v_mul_lo_u32 v9, v6, v9
	v_add_co_u32 v11, vcc_lo, v11, v12
	v_add_co_ci_u32_e32 v12, vcc_lo, 0, v13, vcc_lo
	v_add_co_u32 v10, vcc_lo, v11, v10
	v_add_co_ci_u32_e32 v10, vcc_lo, v12, v14, vcc_lo
	v_add_co_ci_u32_e32 v11, vcc_lo, 0, v15, vcc_lo
	v_add_co_u32 v9, vcc_lo, v10, v9
	v_add_co_ci_u32_e32 v10, vcc_lo, 0, v11, vcc_lo
	v_add_co_u32 v2, vcc_lo, v2, v9
	v_add_co_ci_u32_e32 v6, vcc_lo, v6, v10, vcc_lo
	v_mul_hi_u32 v9, s0, v2
	v_mul_lo_u32 v11, s20, v2
	v_mul_lo_u32 v10, s0, v6
	v_add_nc_u32_e32 v9, v9, v10
	v_mul_lo_u32 v10, s0, v2
	v_add_nc_u32_e32 v9, v9, v11
	v_mul_hi_u32 v11, v2, v10
	v_mul_lo_u32 v12, v2, v9
	v_mul_hi_u32 v13, v2, v9
	v_mul_hi_u32 v14, v6, v10
	v_mul_lo_u32 v10, v6, v10
	v_mul_hi_u32 v15, v6, v9
	v_mul_lo_u32 v9, v6, v9
	v_add_co_u32 v11, vcc_lo, v11, v12
	v_add_co_ci_u32_e32 v12, vcc_lo, 0, v13, vcc_lo
	v_add_co_u32 v10, vcc_lo, v11, v10
	v_add_co_ci_u32_e32 v10, vcc_lo, v12, v14, vcc_lo
	v_add_co_ci_u32_e32 v11, vcc_lo, 0, v15, vcc_lo
	v_add_co_u32 v9, vcc_lo, v10, v9
	v_add_co_ci_u32_e32 v10, vcc_lo, 0, v11, vcc_lo
	v_add_co_u32 v2, vcc_lo, v2, v9
	v_add_co_ci_u32_e32 v6, vcc_lo, v6, v10, vcc_lo
	v_mul_hi_u32 v15, v7, v2
	v_mad_u64_u32 v[11:12], null, v8, v2, 0
	v_mad_u64_u32 v[9:10], null, v7, v6, 0
	v_mad_u64_u32 v[13:14], null, v8, v6, 0
	v_add_co_u32 v2, vcc_lo, v15, v9
	v_add_co_ci_u32_e32 v6, vcc_lo, 0, v10, vcc_lo
	v_add_co_u32 v2, vcc_lo, v2, v11
	v_add_co_ci_u32_e32 v2, vcc_lo, v6, v12, vcc_lo
	v_add_co_ci_u32_e32 v6, vcc_lo, 0, v14, vcc_lo
	v_add_co_u32 v2, vcc_lo, v2, v13
	v_add_co_ci_u32_e32 v6, vcc_lo, 0, v6, vcc_lo
	v_mul_lo_u32 v11, s19, v2
	v_mad_u64_u32 v[9:10], null, s18, v2, 0
	v_mul_lo_u32 v12, s18, v6
	v_sub_co_u32 v9, vcc_lo, v7, v9
	v_add3_u32 v10, v10, v12, v11
	v_sub_nc_u32_e32 v11, v8, v10
	v_subrev_co_ci_u32_e64 v11, s0, s19, v11, vcc_lo
	v_add_co_u32 v12, s0, v2, 2
	v_add_co_ci_u32_e64 v13, s0, 0, v6, s0
	v_sub_co_u32 v14, s0, v9, s18
	v_sub_co_ci_u32_e32 v10, vcc_lo, v8, v10, vcc_lo
	v_subrev_co_ci_u32_e64 v11, s0, 0, v11, s0
	v_cmp_le_u32_e32 vcc_lo, s18, v14
	v_cmp_eq_u32_e64 s0, s19, v10
	v_cndmask_b32_e64 v14, 0, -1, vcc_lo
	v_cmp_le_u32_e32 vcc_lo, s19, v11
	v_cndmask_b32_e64 v15, 0, -1, vcc_lo
	v_cmp_le_u32_e32 vcc_lo, s18, v9
	;; [unrolled: 2-line block ×3, first 2 shown]
	v_cndmask_b32_e64 v16, 0, -1, vcc_lo
	v_cmp_eq_u32_e32 vcc_lo, s19, v11
	v_cndmask_b32_e64 v9, v16, v9, s0
	v_cndmask_b32_e32 v11, v15, v14, vcc_lo
	v_add_co_u32 v14, vcc_lo, v2, 1
	v_add_co_ci_u32_e32 v15, vcc_lo, 0, v6, vcc_lo
	v_cmp_ne_u32_e32 vcc_lo, 0, v11
	v_cndmask_b32_e32 v10, v15, v13, vcc_lo
	v_cndmask_b32_e32 v11, v14, v12, vcc_lo
	v_cmp_ne_u32_e32 vcc_lo, 0, v9
	v_cndmask_b32_e32 v10, v6, v10, vcc_lo
	v_cndmask_b32_e32 v9, v2, v11, vcc_lo
.LBB0_4:                                ;   in Loop: Header=BB0_2 Depth=1
	s_andn2_saveexec_b32 s0, s1
	s_cbranch_execz .LBB0_6
; %bb.5:                                ;   in Loop: Header=BB0_2 Depth=1
	v_cvt_f32_u32_e32 v2, s18
	s_sub_i32 s1, 0, s18
	v_rcp_iflag_f32_e32 v2, v2
	v_mul_f32_e32 v2, 0x4f7ffffe, v2
	v_cvt_u32_f32_e32 v2, v2
	v_mul_lo_u32 v6, s1, v2
	v_mul_hi_u32 v6, v2, v6
	v_add_nc_u32_e32 v2, v2, v6
	v_mul_hi_u32 v2, v7, v2
	v_mul_lo_u32 v6, v2, s18
	v_add_nc_u32_e32 v9, 1, v2
	v_sub_nc_u32_e32 v6, v7, v6
	v_subrev_nc_u32_e32 v10, s18, v6
	v_cmp_le_u32_e32 vcc_lo, s18, v6
	v_cndmask_b32_e32 v6, v6, v10, vcc_lo
	v_cndmask_b32_e32 v2, v2, v9, vcc_lo
	v_mov_b32_e32 v10, v5
	v_cmp_le_u32_e32 vcc_lo, s18, v6
	v_add_nc_u32_e32 v9, 1, v2
	v_cndmask_b32_e32 v9, v2, v9, vcc_lo
.LBB0_6:                                ;   in Loop: Header=BB0_2 Depth=1
	s_or_b32 exec_lo, exec_lo, s0
	s_load_dwordx2 s[0:1], s[6:7], 0x0
	v_mul_lo_u32 v2, v10, s18
	v_mul_lo_u32 v6, v9, s19
	v_mad_u64_u32 v[11:12], null, v9, s18, 0
	s_add_u32 s16, s16, 1
	s_addc_u32 s17, s17, 0
	s_add_u32 s6, s6, 8
	s_addc_u32 s7, s7, 0
	;; [unrolled: 2-line block ×3, first 2 shown]
	v_add3_u32 v2, v12, v6, v2
	v_sub_co_u32 v6, vcc_lo, v7, v11
	v_sub_co_ci_u32_e32 v2, vcc_lo, v8, v2, vcc_lo
	s_waitcnt lgkmcnt(0)
	v_mul_lo_u32 v7, s1, v6
	v_mul_lo_u32 v2, s0, v2
	v_mad_u64_u32 v[3:4], null, s0, v6, v[3:4]
	v_cmp_ge_u64_e64 s0, s[16:17], s[10:11]
	s_and_b32 vcc_lo, exec_lo, s0
	v_add3_u32 v4, v7, v4, v2
	s_cbranch_vccnz .LBB0_8
; %bb.7:                                ;   in Loop: Header=BB0_2 Depth=1
	v_mov_b32_e32 v7, v9
	v_mov_b32_e32 v8, v10
	s_branch .LBB0_2
.LBB0_8:
	s_lshl_b64 s[0:1], s[10:11], 3
	v_mul_hi_u32 v2, 0x38e38e39, v1
	s_add_u32 s0, s12, s0
	s_addc_u32 s1, s13, s1
	v_mul_hi_u32 v5, 0x13b13b14, v0
	s_load_dwordx2 s[0:1], s[0:1], 0x0
	s_load_dwordx2 s[4:5], s[4:5], 0x20
	v_lshrrev_b32_e32 v2, 1, v2
	v_mul_u32_u24_e32 v5, 13, v5
	v_lshl_add_u32 v6, v2, 3, v2
	v_sub_nc_u32_e32 v52, v0, v5
	v_sub_nc_u32_e32 v0, v1, v6
	v_add_nc_u32_e32 v60, 13, v52
	v_add_nc_u32_e32 v58, 26, v52
	;; [unrolled: 1-line block ×3, first 2 shown]
	s_waitcnt lgkmcnt(0)
	v_mul_lo_u32 v5, s0, v10
	v_mul_lo_u32 v7, s1, v9
	v_mad_u64_u32 v[2:3], null, s0, v9, v[3:4]
	v_cmp_gt_u64_e32 vcc_lo, s[4:5], v[9:10]
	v_cmp_le_u64_e64 s0, s[4:5], v[9:10]
	v_add3_u32 v3, v7, v3, v5
	s_and_saveexec_b32 s1, s0
	s_xor_b32 s0, exec_lo, s1
; %bb.9:
	v_add_nc_u32_e32 v60, 13, v52
	v_add_nc_u32_e32 v58, 26, v52
	;; [unrolled: 1-line block ×3, first 2 shown]
; %bb.10:
	s_or_saveexec_b32 s1, s0
	v_mul_u32_u24_e32 v0, 0x9d, v0
	v_lshlrev_b64 v[54:55], 4, v[2:3]
	v_lshlrev_b32_e32 v57, 4, v52
	v_lshlrev_b32_e32 v0, 4, v0
	s_xor_b32 exec_lo, exec_lo, s1
	s_cbranch_execz .LBB0_12
; %bb.11:
	v_mov_b32_e32 v53, 0
	v_add_co_u32 v3, s0, s2, v54
	v_add_co_ci_u32_e64 v4, s0, s3, v55, s0
	v_lshlrev_b64 v[1:2], 4, v[52:53]
	v_add3_u32 v49, 0, v0, v57
	v_add_co_u32 v37, s0, v3, v1
	v_add_co_ci_u32_e64 v38, s0, v4, v2, s0
	s_clause 0x5
	global_load_dwordx4 v[1:4], v[37:38], off
	global_load_dwordx4 v[5:8], v[37:38], off offset:208
	global_load_dwordx4 v[9:12], v[37:38], off offset:416
	;; [unrolled: 1-line block ×5, first 2 shown]
	v_add_co_u32 v45, s0, 0x800, v37
	v_add_co_ci_u32_e64 v46, s0, 0, v38, s0
	s_clause 0x5
	global_load_dwordx4 v[25:28], v[37:38], off offset:1248
	global_load_dwordx4 v[29:32], v[37:38], off offset:1456
	;; [unrolled: 1-line block ×6, first 2 shown]
	s_waitcnt vmcnt(11)
	ds_write_b128 v49, v[1:4]
	s_waitcnt vmcnt(10)
	ds_write_b128 v49, v[5:8] offset:208
	s_waitcnt vmcnt(9)
	ds_write_b128 v49, v[9:12] offset:416
	;; [unrolled: 2-line block ×11, first 2 shown]
.LBB0_12:
	s_or_b32 exec_lo, exec_lo, s1
	v_add3_u32 v53, 0, v57, v0
	s_waitcnt lgkmcnt(0)
	s_barrier
	buffer_gl0_inv
	v_add_nc_u32_e32 v154, 0, v0
	ds_read_b128 v[1:4], v53 offset:1664
	ds_read_b128 v[5:8], v53 offset:832
	;; [unrolled: 1-line block ×9, first 2 shown]
	v_and_b32_e32 v0, 0xff, v52
	v_add_nc_u32_e32 v153, v154, v57
	ds_read_b128 v[37:40], v153
	ds_read_b128 v[41:44], v53 offset:208
	ds_read_b128 v[45:48], v53 offset:624
	v_mul_lo_u16 v0, 0xab, v0
	s_mov_b32 s0, 0xe8584caa
	s_mov_b32 s1, 0xbfebb67a
	;; [unrolled: 1-line block ×4, first 2 shown]
	v_lshrrev_b16 v111, 9, v0
	v_and_b32_e32 v51, 0xff, v60
	s_waitcnt lgkmcnt(10)
	v_add_f64 v[49:50], v[5:6], v[1:2]
	v_add_f64 v[61:62], v[7:8], v[3:4]
	v_add_f64 v[77:78], v[7:8], -v[3:4]
	s_waitcnt lgkmcnt(8)
	v_add_f64 v[63:64], v[9:10], v[13:14]
	v_add_f64 v[65:66], v[11:12], v[15:16]
	s_waitcnt lgkmcnt(5)
	v_add_f64 v[69:70], v[25:26], v[21:22]
	v_add_f64 v[71:72], v[27:28], v[23:24]
	;; [unrolled: 3-line block ×3, first 2 shown]
	v_add_f64 v[67:68], v[17:18], v[25:26]
	s_waitcnt lgkmcnt(2)
	v_add_f64 v[79:80], v[37:38], v[5:6]
	v_add_f64 v[7:8], v[39:40], v[7:8]
	s_waitcnt lgkmcnt(1)
	v_add_f64 v[81:82], v[41:42], v[9:10]
	;; [unrolled: 3-line block ×3, first 2 shown]
	v_add_f64 v[87:88], v[47:48], v[31:32]
	v_add_f64 v[89:90], v[27:28], -v[23:24]
	v_add_f64 v[91:92], v[25:26], -v[21:22]
	;; [unrolled: 1-line block ×4, first 2 shown]
	v_lshl_add_u32 v59, v52, 5, v53
	v_mad_i32_i24 v97, v60, 48, v154
	v_fma_f64 v[37:38], v[49:50], -0.5, v[37:38]
	v_add_f64 v[49:50], v[5:6], -v[1:2]
	v_fma_f64 v[39:40], v[61:62], -0.5, v[39:40]
	v_add_f64 v[61:62], v[11:12], -v[15:16]
	;; [unrolled: 2-line block ×3, first 2 shown]
	v_fma_f64 v[43:44], v[65:66], -0.5, v[43:44]
	v_add_f64 v[65:66], v[19:20], v[27:28]
	v_fma_f64 v[31:32], v[69:70], -0.5, v[17:18]
	v_fma_f64 v[69:70], v[71:72], -0.5, v[19:20]
	v_add_f64 v[0:1], v[79:80], v[1:2]
	v_add_f64 v[2:3], v[7:8], v[3:4]
	v_add_f64 v[4:5], v[81:82], v[13:14]
	v_add_f64 v[6:7], v[83:84], v[15:16]
	v_fma_f64 v[45:46], v[73:74], -0.5, v[45:46]
	v_fma_f64 v[47:48], v[75:76], -0.5, v[47:48]
	s_barrier
	buffer_gl0_inv
	v_add_f64 v[20:21], v[67:68], v[21:22]
	v_add_f64 v[29:30], v[85:86], v[33:34]
	v_mad_i32_i24 v98, v58, 48, v154
	v_fma_f64 v[8:9], v[77:78], s[0:1], v[37:38]
	v_fma_f64 v[12:13], v[77:78], s[4:5], v[37:38]
	;; [unrolled: 1-line block ×8, first 2 shown]
	v_add_f64 v[22:23], v[65:66], v[23:24]
	v_fma_f64 v[37:38], v[89:90], s[0:1], v[31:32]
	v_fma_f64 v[41:42], v[89:90], s[4:5], v[31:32]
	;; [unrolled: 1-line block ×3, first 2 shown]
	v_add_f64 v[31:32], v[87:88], v[35:36]
	v_fma_f64 v[43:44], v[91:92], s[0:1], v[69:70]
	v_fma_f64 v[33:34], v[93:94], s[0:1], v[45:46]
	;; [unrolled: 1-line block ×5, first 2 shown]
	v_mul_lo_u16 v24, v111, 3
	v_mad_i32_i24 v49, v56, 48, v154
	v_lshlrev_b32_e32 v81, 5, v60
	ds_write_b128 v59, v[0:3]
	ds_write_b128 v59, v[8:11] offset:16
	ds_write_b128 v59, v[12:15] offset:32
	ds_write_b128 v97, v[4:7]
	v_mul_lo_u16 v0, 0xab, v51
	v_and_b32_e32 v1, 0xff, v58
	v_sub_nc_u16 v59, v52, v24
	v_mov_b32_e32 v11, 3
	v_mov_b32_e32 v8, 4
	v_lshrrev_b16 v112, 9, v0
	v_mul_lo_u16 v0, 0xab, v1
	v_mul_lo_u16 v2, v59, 3
	ds_write_b128 v97, v[16:19] offset:16
	ds_write_b128 v97, v[25:28] offset:32
	ds_write_b128 v98, v[20:23]
	v_mul_lo_u16 v1, v112, 3
	v_lshrrev_b16 v113, 9, v0
	v_lshlrev_b32_sdwa v9, v8, v2 dst_sel:DWORD dst_unused:UNUSED_PAD src0_sel:DWORD src1_sel:BYTE_0
	ds_write_b128 v98, v[37:40] offset:16
	ds_write_b128 v98, v[41:44] offset:32
	ds_write_b128 v49, v[29:32]
	v_sub_nc_u16 v114, v60, v1
	v_mul_lo_u16 v0, v113, 3
	ds_write_b128 v49, v[33:36] offset:16
	ds_write_b128 v49, v[45:48] offset:32
	s_waitcnt lgkmcnt(0)
	v_mul_lo_u16 v10, v114, 3
	v_sub_nc_u16 v115, v58, v0
	s_barrier
	buffer_gl0_inv
	s_clause 0x1
	global_load_dwordx4 v[0:3], v9, s[8:9]
	global_load_dwordx4 v[4:7], v9, s[8:9] offset:16
	v_lshlrev_b32_sdwa v20, v8, v10 dst_sel:DWORD dst_unused:UNUSED_PAD src0_sel:DWORD src1_sel:BYTE_0
	v_mul_u32_u24_sdwa v16, v115, v11 dst_sel:DWORD dst_unused:UNUSED_PAD src0_sel:BYTE_0 src1_sel:DWORD
	s_clause 0x1
	global_load_dwordx4 v[8:11], v9, s[8:9] offset:32
	global_load_dwordx4 v[12:15], v20, s[8:9]
	v_lshlrev_b32_e32 v36, 5, v56
	v_lshlrev_b32_e32 v32, 4, v16
	s_clause 0x4
	global_load_dwordx4 v[16:19], v20, s[8:9] offset:16
	global_load_dwordx4 v[20:23], v20, s[8:9] offset:32
	global_load_dwordx4 v[24:27], v32, s[8:9]
	global_load_dwordx4 v[28:31], v32, s[8:9] offset:16
	global_load_dwordx4 v[32:35], v32, s[8:9] offset:32
	v_sub_nc_u32_e32 v36, v49, v36
	ds_read_b128 v[36:39], v36
	ds_read_b128 v[40:43], v53 offset:1248
	ds_read_b128 v[44:47], v53 offset:1872
	;; [unrolled: 1-line block ×8, first 2 shown]
	v_lshlrev_b32_e32 v82, 5, v58
	v_sub_nc_u32_e32 v85, v97, v81
	v_cmp_gt_u32_e64 s0, 12, v52
	v_sub_nc_u32_e32 v89, v98, v82
	ds_read_b128 v[81:84], v153
	ds_read_b128 v[85:88], v85
	;; [unrolled: 1-line block ×3, first 2 shown]
	s_waitcnt vmcnt(0) lgkmcnt(0)
	s_barrier
	buffer_gl0_inv
	v_mul_f64 v[93:94], v[38:39], v[2:3]
	v_mul_f64 v[2:3], v[36:37], v[2:3]
	;; [unrolled: 1-line block ×18, first 2 shown]
	v_fma_f64 v[36:37], v[36:37], v[0:1], v[93:94]
	v_fma_f64 v[0:1], v[38:39], v[0:1], -v[2:3]
	v_fma_f64 v[2:3], v[40:41], v[4:5], v[95:96]
	v_fma_f64 v[4:5], v[42:43], v[4:5], -v[6:7]
	;; [unrolled: 2-line block ×9, first 2 shown]
	v_add_f64 v[2:3], v[81:82], -v[2:3]
	v_add_f64 v[34:35], v[83:84], -v[4:5]
	;; [unrolled: 1-line block ×12, first 2 shown]
	v_fma_f64 v[30:31], v[81:82], 2.0, -v[2:3]
	v_fma_f64 v[32:33], v[83:84], 2.0, -v[34:35]
	;; [unrolled: 1-line block ×4, first 2 shown]
	v_add_f64 v[14:15], v[34:35], -v[4:5]
	v_fma_f64 v[48:49], v[85:86], 2.0, -v[38:39]
	v_fma_f64 v[50:51], v[87:88], 2.0, -v[44:45]
	;; [unrolled: 1-line block ×4, first 2 shown]
	v_add_f64 v[12:13], v[2:3], v[6:7]
	v_fma_f64 v[61:62], v[89:90], 2.0, -v[46:47]
	v_fma_f64 v[63:64], v[91:92], 2.0, -v[28:29]
	;; [unrolled: 1-line block ×4, first 2 shown]
	v_add_f64 v[24:25], v[38:39], v[16:17]
	v_add_f64 v[16:17], v[46:47], v[20:21]
	v_add_f64 v[18:19], v[28:29], -v[18:19]
	v_add_f64 v[4:5], v[30:31], -v[26:27]
	;; [unrolled: 1-line block ×4, first 2 shown]
	v_mov_b32_e32 v0, 12
	v_mul_lo_u16 v1, v111, 12
	v_mul_lo_u16 v8, v112, 12
	v_add_f64 v[40:41], v[48:49], -v[10:11]
	v_add_f64 v[42:43], v[50:51], -v[36:37]
	v_fma_f64 v[10:11], v[34:35], 2.0, -v[14:15]
	v_or_b32_e32 v59, v1, v59
	v_add_f64 v[20:21], v[61:62], -v[22:23]
	v_add_f64 v[22:23], v[63:64], -v[65:66]
	v_mul_u32_u24_sdwa v65, v113, v0 dst_sel:DWORD dst_unused:UNUSED_PAD src0_sel:WORD_0 src1_sel:DWORD
	v_or_b32_e32 v66, v8, v114
	v_fma_f64 v[8:9], v[2:3], 2.0, -v[12:13]
	v_fma_f64 v[36:37], v[38:39], 2.0, -v[24:25]
	;; [unrolled: 1-line block ×7, first 2 shown]
	v_or_b32_sdwa v28, v65, v115 dst_sel:DWORD dst_unused:UNUSED_PAD src0_sel:DWORD src1_sel:BYTE_0
	v_fma_f64 v[32:33], v[48:49], 2.0, -v[40:41]
	v_fma_f64 v[34:35], v[50:51], 2.0, -v[42:43]
	v_and_b32_e32 v29, 0xff, v59
	v_and_b32_e32 v30, 0xff, v66
	v_lshl_add_u32 v28, v28, 4, v154
	v_fma_f64 v[48:49], v[61:62], 2.0, -v[20:21]
	v_fma_f64 v[50:51], v[63:64], 2.0, -v[22:23]
	v_lshl_add_u32 v29, v29, 4, v154
	v_lshl_add_u32 v30, v30, 4, v154
	ds_write_b128 v29, v[12:15] offset:144
	ds_write_b128 v29, v[8:11] offset:48
	;; [unrolled: 1-line block ×3, first 2 shown]
	ds_write_b128 v29, v[0:3]
	ds_write_b128 v30, v[32:35]
	ds_write_b128 v30, v[36:39] offset:48
	ds_write_b128 v30, v[40:43] offset:96
	;; [unrolled: 1-line block ×3, first 2 shown]
	ds_write_b128 v28, v[48:51]
	ds_write_b128 v28, v[44:47] offset:48
	ds_write_b128 v28, v[20:23] offset:96
	ds_write_b128 v28, v[16:19] offset:144
	s_waitcnt lgkmcnt(0)
	s_barrier
	buffer_gl0_inv
                                        ; implicit-def: $vgpr30_vgpr31
	s_and_saveexec_b32 s1, s0
	s_cbranch_execz .LBB0_14
; %bb.13:
	ds_read_b128 v[0:3], v153
	ds_read_b128 v[8:11], v53 offset:192
	ds_read_b128 v[4:7], v53 offset:384
	;; [unrolled: 1-line block ×12, first 2 shown]
.LBB0_14:
	s_or_b32 exec_lo, exec_lo, s1
	s_waitcnt lgkmcnt(0)
	s_barrier
	buffer_gl0_inv
	s_and_saveexec_b32 s33, s0
	s_cbranch_execz .LBB0_16
; %bb.15:
	v_add_nc_u32_e32 v59, -12, v52
	v_mov_b32_e32 v62, 0
	s_mov_b32 s31, 0x3fddbe06
	s_mov_b32 s30, 0x4267c47c
	;; [unrolled: 1-line block ×3, first 2 shown]
	v_cndmask_b32_e64 v59, v59, v52, s0
	s_mov_b32 s14, 0x2ef20147
	s_mov_b32 s28, 0x42a4c3d2
	;; [unrolled: 1-line block ×4, first 2 shown]
	v_mul_i32_i24_e32 v61, 12, v59
	s_mov_b32 s27, 0x3fefc445
	s_mov_b32 s15, 0xbfedeba7
	;; [unrolled: 1-line block ×4, first 2 shown]
	v_lshlrev_b64 v[61:62], 4, v[61:62]
	s_mov_b32 s19, 0xbfcea1e5
	s_mov_b32 s23, 0xbfea55e2
	;; [unrolled: 1-line block ×5, first 2 shown]
	v_add_co_u32 v81, s0, s8, v61
	v_add_co_ci_u32_e64 v82, s0, s9, v62, s0
	s_mov_b32 s6, 0xebaa3ed8
	s_mov_b32 s0, 0xb2365da1
	;; [unrolled: 1-line block ×3, first 2 shown]
	s_clause 0x1
	global_load_dwordx4 v[63:66], v[81:82], off offset:224
	global_load_dwordx4 v[67:70], v[81:82], off offset:208
	s_mov_b32 s4, 0xd0032e0c
	s_mov_b32 s24, 0xe00740e9
	;; [unrolled: 1-line block ×11, first 2 shown]
	s_waitcnt vmcnt(1)
	v_mul_f64 v[61:62], v[42:43], v[65:66]
	v_fma_f64 v[61:62], v[40:41], v[63:64], v[61:62]
	v_mul_f64 v[40:41], v[40:41], v[65:66]
	v_fma_f64 v[40:41], v[42:43], v[63:64], -v[40:41]
	s_clause 0x1
	global_load_dwordx4 v[63:66], v[81:82], off offset:240
	global_load_dwordx4 v[71:74], v[81:82], off offset:256
	s_waitcnt vmcnt(1)
	v_mul_f64 v[42:43], v[26:27], v[65:66]
	v_fma_f64 v[42:43], v[24:25], v[63:64], v[42:43]
	v_mul_f64 v[24:25], v[24:25], v[65:66]
	v_add_f64 v[87:88], v[61:62], -v[42:43]
	v_fma_f64 v[63:64], v[26:27], v[63:64], -v[24:25]
	v_mul_f64 v[24:25], v[38:39], v[69:70]
	v_mul_f64 v[105:106], v[87:88], s[30:31]
	v_add_f64 v[91:92], v[40:41], -v[63:64]
	v_fma_f64 v[65:66], v[36:37], v[67:68], v[24:25]
	v_mul_f64 v[24:25], v[36:37], v[69:70]
	v_mul_f64 v[181:182], v[87:88], s[26:27]
	;; [unrolled: 1-line block ×4, first 2 shown]
	v_fma_f64 v[38:39], v[38:39], v[67:68], -v[24:25]
	s_waitcnt vmcnt(0)
	v_mul_f64 v[24:25], v[50:51], v[73:74]
	v_fma_f64 v[36:37], v[48:49], v[71:72], v[24:25]
	v_mul_f64 v[24:25], v[48:49], v[73:74]
	v_add_f64 v[89:90], v[65:66], -v[36:37]
	v_fma_f64 v[48:49], v[50:51], v[71:72], -v[24:25]
	s_clause 0x1
	global_load_dwordx4 v[24:27], v[81:82], off offset:192
	global_load_dwordx4 v[71:74], v[81:82], off offset:176
	v_mul_f64 v[175:176], v[89:90], s[14:15]
	v_add_f64 v[85:86], v[38:39], -v[48:49]
	v_mul_f64 v[177:178], v[85:86], s[14:15]
	s_waitcnt vmcnt(1)
	v_mul_f64 v[50:51], v[34:35], v[26:27]
	v_mul_f64 v[26:27], v[32:33], v[26:27]
	v_fma_f64 v[50:51], v[32:33], v[24:25], v[50:51]
	v_fma_f64 v[67:68], v[34:35], v[24:25], -v[26:27]
	s_clause 0x1
	global_load_dwordx4 v[24:27], v[81:82], off offset:272
	global_load_dwordx4 v[75:78], v[81:82], off offset:288
	s_waitcnt vmcnt(1)
	v_mul_f64 v[32:33], v[46:47], v[26:27]
	v_mul_f64 v[26:27], v[44:45], v[26:27]
	v_fma_f64 v[32:33], v[44:45], v[24:25], v[32:33]
	v_fma_f64 v[34:35], v[46:47], v[24:25], -v[26:27]
	v_mul_f64 v[24:25], v[14:15], v[73:74]
	v_add_f64 v[95:96], v[50:51], -v[32:33]
	v_add_f64 v[93:94], v[67:68], -v[34:35]
	v_fma_f64 v[69:70], v[12:13], v[71:72], v[24:25]
	v_mul_f64 v[12:13], v[12:13], v[73:74]
	v_mul_f64 v[111:112], v[95:96], s[30:31]
	;; [unrolled: 1-line block ×3, first 2 shown]
	v_fma_f64 v[71:72], v[14:15], v[71:72], -v[12:13]
	s_waitcnt vmcnt(0)
	v_mul_f64 v[12:13], v[22:23], v[77:78]
	v_fma_f64 v[44:45], v[20:21], v[75:76], v[12:13]
	v_mul_f64 v[12:13], v[20:21], v[77:78]
	v_add_f64 v[99:100], v[69:70], -v[44:45]
	v_fma_f64 v[46:47], v[22:23], v[75:76], -v[12:13]
	s_clause 0x1
	global_load_dwordx4 v[12:15], v[81:82], off offset:160
	global_load_dwordx4 v[20:23], v[81:82], off offset:144
	v_add_f64 v[97:98], v[71:72], -v[46:47]
	s_waitcnt vmcnt(1)
	v_mul_f64 v[24:25], v[6:7], v[14:15]
	v_fma_f64 v[77:78], v[4:5], v[12:13], v[24:25]
	v_mul_f64 v[4:5], v[4:5], v[14:15]
	v_fma_f64 v[79:80], v[6:7], v[12:13], -v[4:5]
	s_clause 0x1
	global_load_dwordx4 v[4:7], v[81:82], off offset:304
	global_load_dwordx4 v[12:15], v[81:82], off offset:320
	s_waitcnt vmcnt(1)
	v_mul_f64 v[24:25], v[18:19], v[6:7]
	v_mul_f64 v[6:7], v[16:17], v[6:7]
	v_fma_f64 v[73:74], v[16:17], v[4:5], v[24:25]
	v_fma_f64 v[75:76], v[18:19], v[4:5], -v[6:7]
	v_mul_f64 v[4:5], v[10:11], v[22:23]
	v_add_f64 v[103:104], v[77:78], -v[73:74]
	v_add_f64 v[101:102], v[79:80], -v[75:76]
	v_fma_f64 v[16:17], v[8:9], v[20:21], v[4:5]
	v_mul_f64 v[4:5], v[8:9], v[22:23]
	v_mul_f64 v[22:23], v[99:100], s[30:31]
	;; [unrolled: 1-line block ×3, first 2 shown]
	v_fma_f64 v[8:9], v[10:11], v[20:21], -v[4:5]
	s_waitcnt vmcnt(0)
	v_mul_f64 v[4:5], v[30:31], v[14:15]
	v_mul_f64 v[20:21], v[97:98], s[30:31]
	v_fma_f64 v[81:82], v[28:29], v[12:13], v[4:5]
	v_mul_f64 v[4:5], v[28:29], v[14:15]
	v_mul_f64 v[14:15], v[89:90], s[30:31]
	v_add_f64 v[10:11], v[16:17], -v[81:82]
	v_fma_f64 v[83:84], v[30:31], v[12:13], -v[4:5]
	v_mul_f64 v[4:5], v[101:102], s[30:31]
	v_mul_f64 v[12:13], v[85:86], s[30:31]
	s_mov_b32 s31, 0xbfddbe06
	v_add_f64 v[137:138], v[16:17], v[81:82]
	v_mul_f64 v[18:19], v[10:11], s[18:19]
	v_mul_f64 v[24:25], v[10:11], s[12:13]
	;; [unrolled: 1-line block ×6, first 2 shown]
	v_add_f64 v[113:114], v[8:9], v[83:84]
	v_fma_f64 v[115:116], v[113:114], s[16:17], v[18:19]
	v_fma_f64 v[18:19], v[113:114], s[16:17], -v[18:19]
	v_fma_f64 v[117:118], v[113:114], s[4:5], v[24:25]
	v_fma_f64 v[24:25], v[113:114], s[4:5], -v[24:25]
	;; [unrolled: 2-line block ×6, first 2 shown]
	v_add_f64 v[113:114], v[8:9], -v[83:84]
	v_add_f64 v[18:19], v[2:3], v[18:19]
	v_add_f64 v[161:162], v[2:3], v[117:118]
	;; [unrolled: 1-line block ×10, first 2 shown]
	v_mul_f64 v[119:120], v[113:114], s[18:19]
	v_mul_f64 v[129:130], v[113:114], s[12:13]
	;; [unrolled: 1-line block ×6, first 2 shown]
	s_mov_b32 s31, 0x3fe5384d
	s_mov_b32 s30, s12
	v_fma_f64 v[139:140], v[137:138], s[16:17], -v[119:120]
	v_fma_f64 v[141:142], v[137:138], s[16:17], v[119:120]
	v_fma_f64 v[143:144], v[137:138], s[4:5], -v[129:130]
	v_fma_f64 v[129:130], v[137:138], s[4:5], v[129:130]
	;; [unrolled: 2-line block ×6, first 2 shown]
	v_add_f64 v[113:114], v[2:3], v[8:9]
	v_add_f64 v[119:120], v[0:1], v[16:17]
	;; [unrolled: 1-line block ×17, first 2 shown]
	v_fma_f64 v[0:1], v[121:122], s[24:25], v[6:7]
	v_add_f64 v[145:146], v[2:3], v[125:126]
	v_add_f64 v[125:126], v[71:72], v[46:47]
	;; [unrolled: 1-line block ×3, first 2 shown]
	v_fma_f64 v[2:3], v[123:124], s[24:25], -v[4:5]
	v_add_f64 v[129:130], v[67:68], v[34:35]
	v_mul_f64 v[157:158], v[93:94], s[28:29]
	v_fma_f64 v[6:7], v[121:122], s[24:25], -v[6:7]
	v_fma_f64 v[4:5], v[123:124], s[24:25], v[4:5]
	v_add_f64 v[147:148], v[61:62], v[42:43]
	v_add_f64 v[79:80], v[113:114], v[79:80]
	;; [unrolled: 1-line block ×4, first 2 shown]
	v_mul_f64 v[8:9], v[99:100], s[12:13]
	v_add_f64 v[2:3], v[2:3], v[16:17]
	v_add_f64 v[6:7], v[6:7], v[18:19]
	v_add_f64 v[4:5], v[4:5], v[159:160]
	v_mul_f64 v[18:19], v[101:102], s[26:27]
	v_add_f64 v[71:72], v[79:80], v[71:72]
	v_add_f64 v[69:70], v[77:78], v[69:70]
	v_fma_f64 v[10:11], v[125:126], s[4:5], v[8:9]
	v_fma_f64 v[8:9], v[125:126], s[4:5], -v[8:9]
	v_add_f64 v[67:68], v[71:72], v[67:68]
	v_add_f64 v[0:1], v[10:11], v[0:1]
	v_mul_f64 v[10:11], v[97:98], s[12:13]
	v_add_f64 v[6:7], v[8:9], v[6:7]
	v_fma_f64 v[16:17], v[127:128], s[4:5], -v[10:11]
	v_fma_f64 v[8:9], v[127:128], s[4:5], v[10:11]
	v_fma_f64 v[10:11], v[147:148], s[6:7], v[183:184]
	v_add_f64 v[2:3], v[16:17], v[2:3]
	v_mul_f64 v[16:17], v[95:96], s[28:29]
	v_add_f64 v[4:5], v[8:9], v[4:5]
	v_fma_f64 v[131:132], v[129:130], s[10:11], v[16:17]
	v_fma_f64 v[8:9], v[129:130], s[10:11], -v[16:17]
	v_mul_f64 v[16:17], v[103:104], s[26:27]
	v_add_f64 v[0:1], v[131:132], v[0:1]
	v_add_f64 v[131:132], v[50:51], v[32:33]
	;; [unrolled: 1-line block ×4, first 2 shown]
	v_fma_f64 v[133:134], v[131:132], s[10:11], -v[157:158]
	v_fma_f64 v[8:9], v[131:132], s[10:11], v[157:158]
	v_mul_f64 v[157:158], v[99:100], s[22:23]
	v_add_f64 v[50:51], v[50:51], v[65:66]
	v_add_f64 v[2:3], v[133:134], v[2:3]
	;; [unrolled: 1-line block ×4, first 2 shown]
	v_fma_f64 v[159:160], v[125:126], s[10:11], v[157:158]
	v_add_f64 v[38:39], v[67:68], v[38:39]
	v_fma_f64 v[135:136], v[133:134], s[0:1], v[175:176]
	v_fma_f64 v[8:9], v[133:134], s[0:1], -v[175:176]
	v_add_f64 v[38:39], v[38:39], v[40:41]
	v_add_f64 v[0:1], v[135:136], v[0:1]
	;; [unrolled: 1-line block ×5, first 2 shown]
	v_fma_f64 v[137:138], v[135:136], s[0:1], -v[177:178]
	v_fma_f64 v[8:9], v[135:136], s[0:1], v[177:178]
	v_mul_f64 v[177:178], v[87:88], s[14:15]
	v_add_f64 v[38:39], v[38:39], v[48:49]
	v_add_f64 v[179:180], v[137:138], v[2:3]
	;; [unrolled: 1-line block ×6, first 2 shown]
	v_fma_f64 v[8:9], v[137:138], s[6:7], -v[181:182]
	v_add_f64 v[4:5], v[10:11], v[4:5]
	v_fma_f64 v[10:11], v[123:124], s[6:7], -v[18:19]
	v_fma_f64 v[18:19], v[123:124], s[6:7], v[18:19]
	v_fma_f64 v[2:3], v[137:138], s[6:7], v[181:182]
	v_add_f64 v[40:41], v[40:41], v[42:43]
	v_add_f64 v[34:35], v[34:35], v[46:47]
	;; [unrolled: 1-line block ×3, first 2 shown]
	v_fma_f64 v[8:9], v[121:122], s[6:7], v[16:17]
	v_add_f64 v[10:11], v[10:11], v[163:164]
	v_fma_f64 v[16:17], v[121:122], s[6:7], -v[16:17]
	v_add_f64 v[18:19], v[18:19], v[165:166]
	v_add_f64 v[2:3], v[2:3], v[0:1]
	v_fma_f64 v[0:1], v[147:148], s[6:7], -v[183:184]
	v_add_f64 v[36:37], v[40:41], v[36:37]
	v_add_f64 v[34:35], v[34:35], v[75:76]
	;; [unrolled: 1-line block ×4, first 2 shown]
	v_fma_f64 v[24:25], v[125:126], s[10:11], -v[157:158]
	v_mul_f64 v[157:158], v[101:102], s[30:31]
	v_add_f64 v[0:1], v[0:1], v[179:180]
	v_mul_f64 v[179:180], v[91:92], s[14:15]
	v_add_f64 v[32:33], v[36:37], v[32:33]
	v_add_f64 v[34:35], v[34:35], v[83:84]
	;; [unrolled: 1-line block ×3, first 2 shown]
	v_mul_f64 v[159:160], v[97:98], s[22:23]
	v_add_f64 v[16:17], v[24:25], v[16:17]
	v_add_f64 v[32:33], v[32:33], v[44:45]
	v_fma_f64 v[161:162], v[127:128], s[10:11], -v[159:160]
	v_fma_f64 v[24:25], v[127:128], s[10:11], v[159:160]
	v_fma_f64 v[159:160], v[125:126], s[24:25], v[22:23]
	v_fma_f64 v[22:23], v[125:126], s[24:25], -v[22:23]
	v_add_f64 v[32:33], v[32:33], v[73:74]
	v_add_f64 v[10:11], v[161:162], v[10:11]
	v_mul_f64 v[161:162], v[95:96], s[34:35]
	v_add_f64 v[18:19], v[24:25], v[18:19]
	v_add_f64 v[32:33], v[32:33], v[81:82]
	v_fma_f64 v[163:164], v[129:130], s[16:17], v[161:162]
	v_fma_f64 v[24:25], v[129:130], s[16:17], -v[161:162]
	v_add_f64 v[8:9], v[163:164], v[8:9]
	v_mul_f64 v[163:164], v[93:94], s[34:35]
	v_add_f64 v[16:17], v[24:25], v[16:17]
	v_fma_f64 v[175:176], v[131:132], s[16:17], -v[163:164]
	v_fma_f64 v[24:25], v[131:132], s[16:17], v[163:164]
	v_add_f64 v[10:11], v[175:176], v[10:11]
	v_fma_f64 v[175:176], v[133:134], s[24:25], v[14:15]
	v_fma_f64 v[14:15], v[133:134], s[24:25], -v[14:15]
	v_add_f64 v[18:19], v[24:25], v[18:19]
	v_mul_f64 v[24:25], v[103:104], s[30:31]
	v_add_f64 v[8:9], v[175:176], v[8:9]
	v_fma_f64 v[175:176], v[135:136], s[24:25], -v[12:13]
	v_add_f64 v[14:15], v[14:15], v[16:17]
	v_fma_f64 v[12:13], v[135:136], s[24:25], v[12:13]
	v_fma_f64 v[16:17], v[137:138], s[0:1], -v[177:178]
	v_add_f64 v[175:176], v[175:176], v[10:11]
	v_fma_f64 v[10:11], v[137:138], s[0:1], v[177:178]
	v_add_f64 v[12:13], v[12:13], v[18:19]
	v_fma_f64 v[18:19], v[147:148], s[0:1], v[179:180]
	;; [unrolled: 2-line block ×3, first 2 shown]
	v_fma_f64 v[24:25], v[121:122], s[4:5], -v[24:25]
	v_add_f64 v[10:11], v[10:11], v[8:9]
	v_fma_f64 v[8:9], v[147:148], s[0:1], -v[179:180]
	v_add_f64 v[12:13], v[18:19], v[12:13]
	;; [unrolled: 2-line block ×3, first 2 shown]
	v_add_f64 v[24:25], v[24:25], v[26:27]
	v_fma_f64 v[26:27], v[123:124], s[4:5], v[157:158]
	v_mul_f64 v[157:158], v[103:104], s[18:19]
	v_add_f64 v[8:9], v[8:9], v[175:176]
	v_mul_f64 v[175:176], v[91:92], s[28:29]
	v_add_f64 v[18:19], v[18:19], v[169:170]
	v_add_f64 v[16:17], v[159:160], v[16:17]
	v_fma_f64 v[159:160], v[127:128], s[24:25], -v[20:21]
	v_add_f64 v[26:27], v[26:27], v[171:172]
	v_add_f64 v[22:23], v[22:23], v[24:25]
	v_fma_f64 v[20:21], v[127:128], s[24:25], v[20:21]
	v_mul_f64 v[169:170], v[87:88], s[28:29]
	s_mov_b32 s29, 0x3fedeba7
	s_mov_b32 s28, s14
	v_mul_f64 v[171:172], v[91:92], s[12:13]
	v_mul_f64 v[91:92], v[91:92], s[18:19]
	v_add_f64 v[18:19], v[159:160], v[18:19]
	v_mul_f64 v[159:160], v[95:96], s[20:21]
	v_add_f64 v[20:21], v[20:21], v[26:27]
	v_fma_f64 v[26:27], v[147:148], s[10:11], v[175:176]
	v_fma_f64 v[161:162], v[129:130], s[6:7], v[159:160]
	v_fma_f64 v[24:25], v[129:130], s[6:7], -v[159:160]
	v_mul_f64 v[159:160], v[101:102], s[18:19]
	v_add_f64 v[16:17], v[161:162], v[16:17]
	v_mul_f64 v[161:162], v[93:94], s[20:21]
	v_add_f64 v[22:23], v[24:25], v[22:23]
	v_fma_f64 v[163:164], v[131:132], s[6:7], -v[161:162]
	v_fma_f64 v[24:25], v[131:132], s[6:7], v[161:162]
	v_mul_f64 v[161:162], v[99:100], s[28:29]
	v_add_f64 v[18:19], v[163:164], v[18:19]
	v_mul_f64 v[163:164], v[89:90], s[34:35]
	v_add_f64 v[20:21], v[24:25], v[20:21]
	v_fma_f64 v[165:166], v[133:134], s[16:17], v[163:164]
	v_fma_f64 v[24:25], v[133:134], s[16:17], -v[163:164]
	v_mul_f64 v[163:164], v[97:98], s[28:29]
	v_add_f64 v[16:17], v[165:166], v[16:17]
	v_mul_f64 v[165:166], v[85:86], s[34:35]
	v_add_f64 v[22:23], v[24:25], v[22:23]
	v_fma_f64 v[24:25], v[135:136], s[16:17], v[165:166]
	v_fma_f64 v[167:168], v[135:136], s[16:17], -v[165:166]
	v_mul_f64 v[165:166], v[89:90], s[22:23]
	v_add_f64 v[20:21], v[24:25], v[20:21]
	v_fma_f64 v[24:25], v[137:138], s[10:11], -v[169:170]
	v_add_f64 v[167:168], v[167:168], v[18:19]
	v_fma_f64 v[18:19], v[137:138], s[10:11], v[169:170]
	v_mul_f64 v[169:170], v[87:88], s[12:13]
	v_add_f64 v[20:21], v[26:27], v[20:21]
	v_add_f64 v[22:23], v[24:25], v[22:23]
	v_fma_f64 v[24:25], v[121:122], s[16:17], -v[157:158]
	v_fma_f64 v[26:27], v[123:124], s[16:17], v[159:160]
	v_add_f64 v[18:19], v[18:19], v[16:17]
	v_fma_f64 v[16:17], v[147:148], s[10:11], -v[175:176]
	v_fma_f64 v[157:158], v[121:122], s[16:17], v[157:158]
	v_mul_f64 v[175:176], v[101:102], s[14:15]
	v_mul_f64 v[101:102], v[101:102], s[22:23]
	v_add_f64 v[24:25], v[24:25], v[28:29]
	v_fma_f64 v[28:29], v[125:126], s[0:1], -v[161:162]
	v_add_f64 v[26:27], v[26:27], v[173:174]
	v_add_f64 v[16:17], v[16:17], v[167:168]
	v_mul_f64 v[167:168], v[85:86], s[22:23]
	v_mul_f64 v[173:174], v[103:104], s[14:15]
	v_add_f64 v[151:152], v[157:158], v[151:152]
	v_fma_f64 v[157:158], v[123:124], s[16:17], -v[159:160]
	v_mul_f64 v[103:104], v[103:104], s[22:23]
	v_fma_f64 v[38:39], v[123:124], s[10:11], -v[101:102]
	v_add_f64 v[24:25], v[28:29], v[24:25]
	v_fma_f64 v[28:29], v[127:128], s[0:1], v[163:164]
	v_add_f64 v[149:150], v[157:158], v[149:150]
	v_fma_f64 v[157:158], v[125:126], s[0:1], v[161:162]
	v_fma_f64 v[36:37], v[121:122], s[10:11], v[103:104]
	v_add_f64 v[38:39], v[38:39], v[117:118]
	v_add_f64 v[26:27], v[28:29], v[26:27]
	v_fma_f64 v[28:29], v[129:130], s[24:25], -v[111:112]
	v_fma_f64 v[111:112], v[129:130], s[24:25], v[111:112]
	v_add_f64 v[151:152], v[157:158], v[151:152]
	v_fma_f64 v[157:158], v[127:128], s[0:1], -v[163:164]
	v_add_f64 v[36:37], v[36:37], v[115:116]
	v_add_f64 v[24:25], v[28:29], v[24:25]
	v_fma_f64 v[28:29], v[131:132], s[24:25], v[109:110]
	v_fma_f64 v[109:110], v[131:132], s[24:25], -v[109:110]
	v_add_f64 v[111:112], v[111:112], v[151:152]
	v_add_f64 v[149:150], v[157:158], v[149:150]
	v_fma_f64 v[151:152], v[147:148], s[4:5], -v[171:172]
	v_add_f64 v[26:27], v[28:29], v[26:27]
	v_fma_f64 v[28:29], v[133:134], s[10:11], -v[165:166]
	v_add_f64 v[109:110], v[109:110], v[149:150]
	v_fma_f64 v[149:150], v[133:134], s[10:11], v[165:166]
	v_add_f64 v[24:25], v[28:29], v[24:25]
	v_fma_f64 v[28:29], v[135:136], s[10:11], v[167:168]
	v_add_f64 v[111:112], v[149:150], v[111:112]
	v_fma_f64 v[149:150], v[135:136], s[10:11], -v[167:168]
	v_add_f64 v[28:29], v[28:29], v[26:27]
	v_fma_f64 v[26:27], v[137:138], s[4:5], -v[169:170]
	v_add_f64 v[109:110], v[149:150], v[109:110]
	v_fma_f64 v[149:150], v[137:138], s[4:5], v[169:170]
	v_add_f64 v[26:27], v[26:27], v[24:25]
	v_fma_f64 v[24:25], v[147:148], s[4:5], v[171:172]
	v_add_f64 v[109:110], v[151:152], v[109:110]
	v_add_f64 v[111:112], v[149:150], v[111:112]
	v_fma_f64 v[149:150], v[121:122], s[0:1], v[173:174]
	v_add_f64 v[24:25], v[24:25], v[28:29]
	v_fma_f64 v[28:29], v[121:122], s[0:1], -v[173:174]
	v_add_f64 v[145:146], v[149:150], v[145:146]
	v_fma_f64 v[149:150], v[123:124], s[0:1], -v[175:176]
	v_add_f64 v[28:29], v[28:29], v[30:31]
	v_fma_f64 v[30:31], v[123:124], s[0:1], v[175:176]
	v_add_f64 v[143:144], v[149:150], v[143:144]
	v_add_f64 v[30:31], v[30:31], v[155:156]
	v_mul_f64 v[155:156], v[99:100], s[18:19]
	v_mul_f64 v[99:100], v[99:100], s[20:21]
	v_fma_f64 v[177:178], v[125:126], s[16:17], -v[155:156]
	v_fma_f64 v[149:150], v[125:126], s[16:17], v[155:156]
	v_fma_f64 v[40:41], v[125:126], s[6:7], v[99:100]
	v_add_f64 v[28:29], v[177:178], v[28:29]
	v_mul_f64 v[177:178], v[97:98], s[18:19]
	v_add_f64 v[145:146], v[149:150], v[145:146]
	v_mul_f64 v[97:98], v[97:98], s[20:21]
	v_add_f64 v[36:37], v[40:41], v[36:37]
	v_fma_f64 v[179:180], v[127:128], s[16:17], v[177:178]
	v_fma_f64 v[149:150], v[127:128], s[16:17], -v[177:178]
	v_fma_f64 v[42:43], v[127:128], s[6:7], -v[97:98]
	v_add_f64 v[30:31], v[179:180], v[30:31]
	v_mul_f64 v[179:180], v[95:96], s[30:31]
	v_add_f64 v[143:144], v[149:150], v[143:144]
	v_mul_f64 v[95:96], v[95:96], s[14:15]
	v_add_f64 v[38:39], v[42:43], v[38:39]
	v_fma_f64 v[181:182], v[129:130], s[4:5], -v[179:180]
	v_fma_f64 v[149:150], v[129:130], s[4:5], v[179:180]
	v_fma_f64 v[44:45], v[129:130], s[0:1], v[95:96]
	v_add_f64 v[28:29], v[181:182], v[28:29]
	v_mul_f64 v[181:182], v[93:94], s[30:31]
	v_add_f64 v[145:146], v[149:150], v[145:146]
	v_mul_f64 v[93:94], v[93:94], s[14:15]
	v_add_f64 v[36:37], v[44:45], v[36:37]
	v_fma_f64 v[183:184], v[131:132], s[4:5], v[181:182]
	v_fma_f64 v[149:150], v[131:132], s[4:5], -v[181:182]
	v_fma_f64 v[46:47], v[131:132], s[0:1], -v[93:94]
	v_add_f64 v[30:31], v[183:184], v[30:31]
	v_mul_f64 v[183:184], v[89:90], s[26:27]
	v_add_f64 v[143:144], v[149:150], v[143:144]
	v_mul_f64 v[89:90], v[89:90], s[12:13]
	v_add_f64 v[38:39], v[46:47], v[38:39]
	v_fma_f64 v[46:47], v[147:148], s[16:17], -v[91:92]
	v_fma_f64 v[185:186], v[133:134], s[6:7], -v[183:184]
	v_fma_f64 v[149:150], v[133:134], s[6:7], v[183:184]
	v_fma_f64 v[40:41], v[133:134], s[4:5], v[89:90]
	v_add_f64 v[28:29], v[185:186], v[28:29]
	v_mul_f64 v[185:186], v[85:86], s[26:27]
	v_add_f64 v[145:146], v[149:150], v[145:146]
	v_add_f64 v[36:37], v[40:41], v[36:37]
	v_fma_f64 v[187:188], v[135:136], s[6:7], v[185:186]
	v_fma_f64 v[149:150], v[135:136], s[6:7], -v[185:186]
	v_add_f64 v[187:188], v[187:188], v[30:31]
	v_fma_f64 v[30:31], v[137:138], s[24:25], -v[105:106]
	v_add_f64 v[143:144], v[149:150], v[143:144]
	v_fma_f64 v[105:106], v[137:138], s[24:25], v[105:106]
	v_fma_f64 v[149:150], v[147:148], s[24:25], -v[107:108]
	v_add_f64 v[30:31], v[30:31], v[28:29]
	v_fma_f64 v[28:29], v[147:148], s[24:25], v[107:108]
	v_add_f64 v[107:108], v[105:106], v[145:146]
	v_add_f64 v[105:106], v[149:150], v[143:144]
	v_fma_f64 v[143:144], v[121:122], s[10:11], -v[103:104]
	v_add_f64 v[28:29], v[28:29], v[187:188]
	v_add_f64 v[141:142], v[143:144], v[141:142]
	v_fma_f64 v[143:144], v[123:124], s[10:11], v[101:102]
	v_add_f64 v[139:140], v[143:144], v[139:140]
	v_fma_f64 v[143:144], v[125:126], s[6:7], -v[99:100]
	v_add_f64 v[141:142], v[143:144], v[141:142]
	v_fma_f64 v[143:144], v[127:128], s[6:7], v[97:98]
	v_add_f64 v[139:140], v[143:144], v[139:140]
	v_fma_f64 v[143:144], v[129:130], s[0:1], -v[95:96]
	;; [unrolled: 4-line block ×3, first 2 shown]
	v_add_f64 v[141:142], v[143:144], v[141:142]
	v_mul_f64 v[143:144], v[85:86], s[12:13]
	v_fma_f64 v[85:86], v[135:136], s[4:5], v[143:144]
	v_fma_f64 v[42:43], v[135:136], s[4:5], -v[143:144]
	v_add_f64 v[85:86], v[85:86], v[139:140]
	v_mul_f64 v[139:140], v[87:88], s[18:19]
	v_add_f64 v[40:41], v[42:43], v[38:39]
	v_fma_f64 v[87:88], v[137:138], s[16:17], -v[139:140]
	v_fma_f64 v[44:45], v[137:138], s[16:17], v[139:140]
	v_add_f64 v[87:88], v[87:88], v[141:142]
	v_fma_f64 v[141:142], v[147:148], s[16:17], v[91:92]
	v_add_f64 v[38:39], v[44:45], v[36:37]
	v_add_f64 v[36:37], v[46:47], v[40:41]
	v_add_f64 v[85:86], v[141:142], v[85:86]
	ds_write_b128 v53, v[28:31] offset:384
	ds_write_b128 v53, v[24:27] offset:576
	;; [unrolled: 1-line block ×11, first 2 shown]
	ds_write_b128 v153, v[32:35]
	ds_write_b128 v53, v[36:39] offset:2304
.LBB0_16:
	s_or_b32 exec_lo, exec_lo, s33
	s_waitcnt lgkmcnt(0)
	s_barrier
	buffer_gl0_inv
	ds_read_b128 v[4:7], v153
	v_sub_nc_u32_e32 v14, v154, v57
	s_add_u32 s1, s8, 0x990
	s_addc_u32 s4, s9, 0
	s_mov_b32 s5, exec_lo
                                        ; implicit-def: $vgpr0_vgpr1
                                        ; implicit-def: $vgpr10_vgpr11
                                        ; implicit-def: $vgpr12_vgpr13
                                        ; implicit-def: $vgpr8_vgpr9
	v_cmpx_ne_u32_e32 0, v52
	s_xor_b32 s5, exec_lo, s5
	s_cbranch_execz .LBB0_18
; %bb.17:
	v_mov_b32_e32 v53, 0
	v_lshlrev_b64 v[0:1], 4, v[52:53]
	v_add_co_u32 v0, s0, s1, v0
	v_add_co_ci_u32_e64 v1, s0, s4, v1, s0
	global_load_dwordx4 v[8:11], v[0:1], off
	ds_read_b128 v[0:3], v14 offset:2496
	s_waitcnt lgkmcnt(0)
	v_add_f64 v[12:13], v[4:5], -v[0:1]
	v_add_f64 v[15:16], v[6:7], v[2:3]
	v_add_f64 v[2:3], v[6:7], -v[2:3]
	v_add_f64 v[0:1], v[4:5], v[0:1]
	v_mul_f64 v[6:7], v[12:13], 0.5
	v_mul_f64 v[4:5], v[15:16], 0.5
	;; [unrolled: 1-line block ×3, first 2 shown]
	s_waitcnt vmcnt(0)
	v_mul_f64 v[12:13], v[6:7], v[10:11]
	v_fma_f64 v[15:16], v[4:5], v[10:11], v[2:3]
	v_fma_f64 v[2:3], v[4:5], v[10:11], -v[2:3]
	v_fma_f64 v[17:18], v[0:1], 0.5, v[12:13]
	v_fma_f64 v[0:1], v[0:1], 0.5, -v[12:13]
	v_fma_f64 v[12:13], -v[8:9], v[6:7], v[15:16]
	v_fma_f64 v[2:3], -v[8:9], v[6:7], v[2:3]
	v_fma_f64 v[10:11], v[4:5], v[8:9], v[17:18]
	v_fma_f64 v[0:1], -v[4:5], v[8:9], v[0:1]
	v_mov_b32_e32 v8, v52
	v_mov_b32_e32 v9, v53
                                        ; implicit-def: $vgpr4_vgpr5
.LBB0_18:
	s_andn2_saveexec_b32 s0, s5
	s_cbranch_execz .LBB0_20
; %bb.19:
	ds_read_b64 v[15:16], v154 offset:1256
	s_waitcnt lgkmcnt(1)
	v_add_f64 v[10:11], v[4:5], v[6:7]
	v_add_f64 v[0:1], v[4:5], -v[6:7]
	v_mov_b32_e32 v12, 0
	v_mov_b32_e32 v13, 0
	v_mov_b32_e32 v8, 0
	v_mov_b32_e32 v2, v12
	v_mov_b32_e32 v9, 0
	v_mov_b32_e32 v3, v13
	s_waitcnt lgkmcnt(0)
	v_xor_b32_e32 v16, 0x80000000, v16
	ds_write_b64 v154, v[15:16] offset:1256
.LBB0_20:
	s_or_b32 exec_lo, exec_lo, s0
	v_mov_b32_e32 v61, 0
	v_lshl_add_u32 v29, v60, 4, v154
	ds_write2_b64 v153, v[10:11], v[12:13] offset1:1
	ds_write_b128 v14, v[0:3] offset:2496
	v_lshl_add_u32 v30, v58, 4, v154
	s_waitcnt lgkmcnt(2)
	v_lshlrev_b64 v[4:5], 4, v[60:61]
	v_mov_b32_e32 v59, v61
	v_mov_b32_e32 v57, v61
	v_lshlrev_b64 v[15:16], 4, v[58:59]
	v_add_co_u32 v4, s0, s1, v4
	v_add_co_ci_u32_e64 v5, s0, s4, v5, s0
	v_lshlrev_b64 v[19:20], 4, v[56:57]
	v_add_co_u32 v15, s0, s1, v15
	global_load_dwordx4 v[4:7], v[4:5], off
	v_add_co_ci_u32_e64 v16, s0, s4, v16, s0
	v_add_co_u32 v19, s0, s1, v19
	v_add_co_ci_u32_e64 v20, s0, s4, v20, s0
	global_load_dwordx4 v[15:18], v[15:16], off
	ds_read_b128 v[0:3], v29
	ds_read_b128 v[10:13], v14 offset:2288
	global_load_dwordx4 v[19:22], v[19:20], off
	s_waitcnt lgkmcnt(0)
	v_add_f64 v[23:24], v[0:1], -v[10:11]
	v_add_f64 v[25:26], v[2:3], v[12:13]
	v_add_f64 v[2:3], v[2:3], -v[12:13]
	v_add_f64 v[0:1], v[0:1], v[10:11]
	v_mul_f64 v[12:13], v[23:24], 0.5
	v_mul_f64 v[23:24], v[25:26], 0.5
	;; [unrolled: 1-line block ×3, first 2 shown]
	s_waitcnt vmcnt(2)
	v_mul_f64 v[10:11], v[12:13], v[6:7]
	v_fma_f64 v[25:26], v[23:24], v[6:7], v[2:3]
	v_fma_f64 v[2:3], v[23:24], v[6:7], -v[2:3]
	v_fma_f64 v[27:28], v[0:1], 0.5, v[10:11]
	v_fma_f64 v[0:1], v[0:1], 0.5, -v[10:11]
	v_fma_f64 v[10:11], -v[4:5], v[12:13], v[25:26]
	v_fma_f64 v[6:7], -v[4:5], v[12:13], v[2:3]
	v_fma_f64 v[2:3], v[23:24], v[4:5], v[27:28]
	v_fma_f64 v[4:5], -v[23:24], v[4:5], v[0:1]
	v_lshlrev_b64 v[0:1], 4, v[8:9]
	ds_write2_b64 v29, v[2:3], v[10:11] offset1:1
	ds_write_b128 v14, v[4:7] offset:2288
	v_add_co_u32 v23, s0, s1, v0
	ds_read_b128 v[2:5], v30
	ds_read_b128 v[6:9], v14 offset:2080
	v_add_co_ci_u32_e64 v24, s0, s4, v1, s0
	global_load_dwordx4 v[10:13], v[23:24], off offset:832
	s_waitcnt lgkmcnt(0)
	v_add_f64 v[25:26], v[2:3], -v[6:7]
	v_add_f64 v[27:28], v[4:5], v[8:9]
	v_add_f64 v[4:5], v[4:5], -v[8:9]
	v_add_f64 v[2:3], v[2:3], v[6:7]
	v_mul_f64 v[8:9], v[25:26], 0.5
	v_mul_f64 v[25:26], v[27:28], 0.5
	;; [unrolled: 1-line block ×3, first 2 shown]
	s_waitcnt vmcnt(2)
	v_mul_f64 v[6:7], v[8:9], v[17:18]
	v_fma_f64 v[27:28], v[25:26], v[17:18], v[4:5]
	v_fma_f64 v[4:5], v[25:26], v[17:18], -v[4:5]
	v_fma_f64 v[17:18], v[2:3], 0.5, v[6:7]
	v_fma_f64 v[2:3], v[2:3], 0.5, -v[6:7]
	v_fma_f64 v[6:7], -v[15:16], v[8:9], v[27:28]
	v_fma_f64 v[4:5], -v[15:16], v[8:9], v[4:5]
	v_lshl_add_u32 v27, v56, 4, v154
	v_fma_f64 v[8:9], v[25:26], v[15:16], v[17:18]
	v_fma_f64 v[2:3], -v[25:26], v[15:16], v[2:3]
	ds_write2_b64 v30, v[8:9], v[6:7] offset1:1
	ds_write_b128 v14, v[2:5] offset:2080
	ds_read_b128 v[2:5], v27
	ds_read_b128 v[6:9], v14 offset:1872
	global_load_dwordx4 v[15:18], v[23:24], off offset:1040
	s_waitcnt lgkmcnt(0)
	v_add_f64 v[23:24], v[2:3], -v[6:7]
	v_add_f64 v[25:26], v[4:5], v[8:9]
	v_add_f64 v[4:5], v[4:5], -v[8:9]
	v_add_f64 v[2:3], v[2:3], v[6:7]
	v_mul_f64 v[8:9], v[23:24], 0.5
	v_mul_f64 v[23:24], v[25:26], 0.5
	;; [unrolled: 1-line block ×3, first 2 shown]
	s_waitcnt vmcnt(2)
	v_mul_f64 v[6:7], v[8:9], v[21:22]
	v_fma_f64 v[25:26], v[23:24], v[21:22], v[4:5]
	v_fma_f64 v[4:5], v[23:24], v[21:22], -v[4:5]
	v_fma_f64 v[21:22], v[2:3], 0.5, v[6:7]
	v_fma_f64 v[2:3], v[2:3], 0.5, -v[6:7]
	v_fma_f64 v[6:7], -v[19:20], v[8:9], v[25:26]
	v_fma_f64 v[4:5], -v[19:20], v[8:9], v[4:5]
	v_fma_f64 v[8:9], v[23:24], v[19:20], v[21:22]
	v_fma_f64 v[2:3], -v[23:24], v[19:20], v[2:3]
	ds_write2_b64 v27, v[8:9], v[6:7] offset1:1
	ds_write_b128 v14, v[2:5] offset:1872
	ds_read_b128 v[2:5], v153 offset:832
	ds_read_b128 v[6:9], v14 offset:1664
	s_waitcnt lgkmcnt(0)
	v_add_f64 v[19:20], v[2:3], -v[6:7]
	v_add_f64 v[21:22], v[4:5], v[8:9]
	v_add_f64 v[4:5], v[4:5], -v[8:9]
	v_add_f64 v[2:3], v[2:3], v[6:7]
	v_mul_f64 v[8:9], v[19:20], 0.5
	v_mul_f64 v[19:20], v[21:22], 0.5
	;; [unrolled: 1-line block ×3, first 2 shown]
	s_waitcnt vmcnt(1)
	v_mul_f64 v[6:7], v[8:9], v[12:13]
	v_fma_f64 v[21:22], v[19:20], v[12:13], v[4:5]
	v_fma_f64 v[4:5], v[19:20], v[12:13], -v[4:5]
	v_fma_f64 v[12:13], v[2:3], 0.5, v[6:7]
	v_fma_f64 v[2:3], v[2:3], 0.5, -v[6:7]
	v_fma_f64 v[6:7], -v[10:11], v[8:9], v[21:22]
	v_fma_f64 v[4:5], -v[10:11], v[8:9], v[4:5]
	v_fma_f64 v[8:9], v[19:20], v[10:11], v[12:13]
	v_fma_f64 v[2:3], -v[19:20], v[10:11], v[2:3]
	ds_write2_b64 v153, v[8:9], v[6:7] offset0:104 offset1:105
	ds_write_b128 v14, v[2:5] offset:1664
	ds_read_b128 v[2:5], v153 offset:1040
	ds_read_b128 v[6:9], v14 offset:1456
	s_waitcnt lgkmcnt(0)
	v_add_f64 v[10:11], v[2:3], -v[6:7]
	v_add_f64 v[12:13], v[4:5], v[8:9]
	v_add_f64 v[4:5], v[4:5], -v[8:9]
	v_add_f64 v[2:3], v[2:3], v[6:7]
	v_mul_f64 v[8:9], v[10:11], 0.5
	v_mul_f64 v[10:11], v[12:13], 0.5
	;; [unrolled: 1-line block ×3, first 2 shown]
	s_waitcnt vmcnt(0)
	v_mul_f64 v[6:7], v[8:9], v[17:18]
	v_fma_f64 v[12:13], v[10:11], v[17:18], v[4:5]
	v_fma_f64 v[4:5], v[10:11], v[17:18], -v[4:5]
	v_fma_f64 v[17:18], v[2:3], 0.5, v[6:7]
	v_fma_f64 v[2:3], v[2:3], 0.5, -v[6:7]
	v_fma_f64 v[6:7], -v[15:16], v[8:9], v[12:13]
	v_fma_f64 v[4:5], -v[15:16], v[8:9], v[4:5]
	v_fma_f64 v[8:9], v[10:11], v[15:16], v[17:18]
	v_fma_f64 v[2:3], -v[10:11], v[15:16], v[2:3]
	ds_write2_b64 v153, v[8:9], v[6:7] offset0:130 offset1:131
	ds_write_b128 v14, v[2:5] offset:1456
	s_waitcnt lgkmcnt(0)
	s_barrier
	buffer_gl0_inv
	s_and_saveexec_b32 s0, vcc_lo
	s_cbranch_execz .LBB0_23
; %bb.21:
	ds_read_b128 v[4:7], v153
	ds_read_b128 v[8:11], v153 offset:208
	ds_read_b128 v[12:15], v153 offset:416
	;; [unrolled: 1-line block ×6, first 2 shown]
	v_add_co_u32 v2, vcc_lo, s2, v54
	ds_read_b128 v[32:35], v153 offset:1456
	ds_read_b128 v[36:39], v153 offset:1664
	;; [unrolled: 1-line block ×5, first 2 shown]
	v_add_co_ci_u32_e32 v3, vcc_lo, s3, v55, vcc_lo
	v_add_co_u32 v0, vcc_lo, v2, v0
	v_add_co_ci_u32_e32 v1, vcc_lo, v3, v1, vcc_lo
	s_waitcnt lgkmcnt(11)
	global_store_dwordx4 v[0:1], v[4:7], off
	s_waitcnt lgkmcnt(10)
	global_store_dwordx4 v[0:1], v[8:11], off offset:208
	s_waitcnt lgkmcnt(9)
	global_store_dwordx4 v[0:1], v[12:15], off offset:416
	;; [unrolled: 2-line block ×6, first 2 shown]
	v_add_co_u32 v4, vcc_lo, 0x800, v0
	v_add_co_ci_u32_e32 v5, vcc_lo, 0, v1, vcc_lo
	v_cmp_eq_u32_e32 vcc_lo, 12, v52
	s_waitcnt lgkmcnt(4)
	global_store_dwordx4 v[0:1], v[32:35], off offset:1456
	s_waitcnt lgkmcnt(3)
	global_store_dwordx4 v[0:1], v[36:39], off offset:1664
	;; [unrolled: 2-line block ×5, first 2 shown]
	s_and_b32 exec_lo, exec_lo, vcc_lo
	s_cbranch_execz .LBB0_23
; %bb.22:
	ds_read_b128 v[4:7], v153 offset:2304
	v_add_co_u32 v0, vcc_lo, 0x800, v2
	v_add_co_ci_u32_e32 v1, vcc_lo, 0, v3, vcc_lo
	s_waitcnt lgkmcnt(0)
	global_store_dwordx4 v[0:1], v[4:7], off offset:448
.LBB0_23:
	s_endpgm
	.section	.rodata,"a",@progbits
	.p2align	6, 0x0
	.amdhsa_kernel fft_rtc_back_len156_factors_3_4_13_wgs_117_tpt_13_dp_ip_CI_unitstride_sbrr_R2C_dirReg
		.amdhsa_group_segment_fixed_size 0
		.amdhsa_private_segment_fixed_size 0
		.amdhsa_kernarg_size 88
		.amdhsa_user_sgpr_count 6
		.amdhsa_user_sgpr_private_segment_buffer 1
		.amdhsa_user_sgpr_dispatch_ptr 0
		.amdhsa_user_sgpr_queue_ptr 0
		.amdhsa_user_sgpr_kernarg_segment_ptr 1
		.amdhsa_user_sgpr_dispatch_id 0
		.amdhsa_user_sgpr_flat_scratch_init 0
		.amdhsa_user_sgpr_private_segment_size 0
		.amdhsa_wavefront_size32 1
		.amdhsa_uses_dynamic_stack 0
		.amdhsa_system_sgpr_private_segment_wavefront_offset 0
		.amdhsa_system_sgpr_workgroup_id_x 1
		.amdhsa_system_sgpr_workgroup_id_y 0
		.amdhsa_system_sgpr_workgroup_id_z 0
		.amdhsa_system_sgpr_workgroup_info 0
		.amdhsa_system_vgpr_workitem_id 0
		.amdhsa_next_free_vgpr 189
		.amdhsa_next_free_sgpr 36
		.amdhsa_reserve_vcc 1
		.amdhsa_reserve_flat_scratch 0
		.amdhsa_float_round_mode_32 0
		.amdhsa_float_round_mode_16_64 0
		.amdhsa_float_denorm_mode_32 3
		.amdhsa_float_denorm_mode_16_64 3
		.amdhsa_dx10_clamp 1
		.amdhsa_ieee_mode 1
		.amdhsa_fp16_overflow 0
		.amdhsa_workgroup_processor_mode 1
		.amdhsa_memory_ordered 1
		.amdhsa_forward_progress 0
		.amdhsa_shared_vgpr_count 0
		.amdhsa_exception_fp_ieee_invalid_op 0
		.amdhsa_exception_fp_denorm_src 0
		.amdhsa_exception_fp_ieee_div_zero 0
		.amdhsa_exception_fp_ieee_overflow 0
		.amdhsa_exception_fp_ieee_underflow 0
		.amdhsa_exception_fp_ieee_inexact 0
		.amdhsa_exception_int_div_zero 0
	.end_amdhsa_kernel
	.text
.Lfunc_end0:
	.size	fft_rtc_back_len156_factors_3_4_13_wgs_117_tpt_13_dp_ip_CI_unitstride_sbrr_R2C_dirReg, .Lfunc_end0-fft_rtc_back_len156_factors_3_4_13_wgs_117_tpt_13_dp_ip_CI_unitstride_sbrr_R2C_dirReg
                                        ; -- End function
	.section	.AMDGPU.csdata,"",@progbits
; Kernel info:
; codeLenInByte = 9708
; NumSgprs: 38
; NumVgprs: 189
; ScratchSize: 0
; MemoryBound: 0
; FloatMode: 240
; IeeeMode: 1
; LDSByteSize: 0 bytes/workgroup (compile time only)
; SGPRBlocks: 4
; VGPRBlocks: 23
; NumSGPRsForWavesPerEU: 38
; NumVGPRsForWavesPerEU: 189
; Occupancy: 5
; WaveLimiterHint : 1
; COMPUTE_PGM_RSRC2:SCRATCH_EN: 0
; COMPUTE_PGM_RSRC2:USER_SGPR: 6
; COMPUTE_PGM_RSRC2:TRAP_HANDLER: 0
; COMPUTE_PGM_RSRC2:TGID_X_EN: 1
; COMPUTE_PGM_RSRC2:TGID_Y_EN: 0
; COMPUTE_PGM_RSRC2:TGID_Z_EN: 0
; COMPUTE_PGM_RSRC2:TIDIG_COMP_CNT: 0
	.text
	.p2alignl 6, 3214868480
	.fill 48, 4, 3214868480
	.type	__hip_cuid_1833c48a577b513a,@object ; @__hip_cuid_1833c48a577b513a
	.section	.bss,"aw",@nobits
	.globl	__hip_cuid_1833c48a577b513a
__hip_cuid_1833c48a577b513a:
	.byte	0                               ; 0x0
	.size	__hip_cuid_1833c48a577b513a, 1

	.ident	"AMD clang version 19.0.0git (https://github.com/RadeonOpenCompute/llvm-project roc-6.4.0 25133 c7fe45cf4b819c5991fe208aaa96edf142730f1d)"
	.section	".note.GNU-stack","",@progbits
	.addrsig
	.addrsig_sym __hip_cuid_1833c48a577b513a
	.amdgpu_metadata
---
amdhsa.kernels:
  - .args:
      - .actual_access:  read_only
        .address_space:  global
        .offset:         0
        .size:           8
        .value_kind:     global_buffer
      - .offset:         8
        .size:           8
        .value_kind:     by_value
      - .actual_access:  read_only
        .address_space:  global
        .offset:         16
        .size:           8
        .value_kind:     global_buffer
      - .actual_access:  read_only
        .address_space:  global
        .offset:         24
        .size:           8
        .value_kind:     global_buffer
      - .offset:         32
        .size:           8
        .value_kind:     by_value
      - .actual_access:  read_only
        .address_space:  global
        .offset:         40
        .size:           8
        .value_kind:     global_buffer
      - .actual_access:  read_only
        .address_space:  global
        .offset:         48
        .size:           8
        .value_kind:     global_buffer
      - .offset:         56
        .size:           4
        .value_kind:     by_value
      - .actual_access:  read_only
        .address_space:  global
        .offset:         64
        .size:           8
        .value_kind:     global_buffer
      - .actual_access:  read_only
        .address_space:  global
        .offset:         72
        .size:           8
        .value_kind:     global_buffer
      - .address_space:  global
        .offset:         80
        .size:           8
        .value_kind:     global_buffer
    .group_segment_fixed_size: 0
    .kernarg_segment_align: 8
    .kernarg_segment_size: 88
    .language:       OpenCL C
    .language_version:
      - 2
      - 0
    .max_flat_workgroup_size: 117
    .name:           fft_rtc_back_len156_factors_3_4_13_wgs_117_tpt_13_dp_ip_CI_unitstride_sbrr_R2C_dirReg
    .private_segment_fixed_size: 0
    .sgpr_count:     38
    .sgpr_spill_count: 0
    .symbol:         fft_rtc_back_len156_factors_3_4_13_wgs_117_tpt_13_dp_ip_CI_unitstride_sbrr_R2C_dirReg.kd
    .uniform_work_group_size: 1
    .uses_dynamic_stack: false
    .vgpr_count:     189
    .vgpr_spill_count: 0
    .wavefront_size: 32
    .workgroup_processor_mode: 1
amdhsa.target:   amdgcn-amd-amdhsa--gfx1030
amdhsa.version:
  - 1
  - 2
...

	.end_amdgpu_metadata
